;; amdgpu-corpus repo=ROCm/rocFFT kind=compiled arch=gfx906 opt=O3
	.text
	.amdgcn_target "amdgcn-amd-amdhsa--gfx906"
	.amdhsa_code_object_version 6
	.protected	fft_rtc_fwd_len1800_factors_10_6_10_3_wgs_180_tpt_180_halfLds_dp_op_CI_CI_unitstride_sbrr_C2R_dirReg ; -- Begin function fft_rtc_fwd_len1800_factors_10_6_10_3_wgs_180_tpt_180_halfLds_dp_op_CI_CI_unitstride_sbrr_C2R_dirReg
	.globl	fft_rtc_fwd_len1800_factors_10_6_10_3_wgs_180_tpt_180_halfLds_dp_op_CI_CI_unitstride_sbrr_C2R_dirReg
	.p2align	8
	.type	fft_rtc_fwd_len1800_factors_10_6_10_3_wgs_180_tpt_180_halfLds_dp_op_CI_CI_unitstride_sbrr_C2R_dirReg,@function
fft_rtc_fwd_len1800_factors_10_6_10_3_wgs_180_tpt_180_halfLds_dp_op_CI_CI_unitstride_sbrr_C2R_dirReg: ; @fft_rtc_fwd_len1800_factors_10_6_10_3_wgs_180_tpt_180_halfLds_dp_op_CI_CI_unitstride_sbrr_C2R_dirReg
; %bb.0:
	s_load_dwordx4 s[8:11], s[4:5], 0x58
	s_load_dwordx4 s[12:15], s[4:5], 0x0
	;; [unrolled: 1-line block ×3, first 2 shown]
	v_mul_u32_u24_e32 v1, 0x16d, v0
	v_add_u32_sdwa v5, s6, v1 dst_sel:DWORD dst_unused:UNUSED_PAD src0_sel:DWORD src1_sel:WORD_1
	v_mov_b32_e32 v3, 0
	s_waitcnt lgkmcnt(0)
	v_cmp_lt_u64_e64 s[0:1], s[14:15], 2
	v_mov_b32_e32 v1, 0
	v_mov_b32_e32 v6, v3
	s_and_b64 vcc, exec, s[0:1]
	v_mov_b32_e32 v2, 0
	s_cbranch_vccnz .LBB0_8
; %bb.1:
	s_load_dwordx2 s[0:1], s[4:5], 0x10
	s_add_u32 s2, s18, 8
	s_addc_u32 s3, s19, 0
	s_add_u32 s6, s16, 8
	v_mov_b32_e32 v1, 0
	s_addc_u32 s7, s17, 0
	v_mov_b32_e32 v2, 0
	s_waitcnt lgkmcnt(0)
	s_add_u32 s20, s0, 8
	v_mov_b32_e32 v49, v2
	s_addc_u32 s21, s1, 0
	s_mov_b64 s[22:23], 1
	v_mov_b32_e32 v48, v1
.LBB0_2:                                ; =>This Inner Loop Header: Depth=1
	s_load_dwordx2 s[24:25], s[20:21], 0x0
                                        ; implicit-def: $vgpr50_vgpr51
	s_waitcnt lgkmcnt(0)
	v_or_b32_e32 v4, s25, v6
	v_cmp_ne_u64_e32 vcc, 0, v[3:4]
	s_and_saveexec_b64 s[0:1], vcc
	s_xor_b64 s[26:27], exec, s[0:1]
	s_cbranch_execz .LBB0_4
; %bb.3:                                ;   in Loop: Header=BB0_2 Depth=1
	v_cvt_f32_u32_e32 v4, s24
	v_cvt_f32_u32_e32 v7, s25
	s_sub_u32 s0, 0, s24
	s_subb_u32 s1, 0, s25
	v_mac_f32_e32 v4, 0x4f800000, v7
	v_rcp_f32_e32 v4, v4
	v_mul_f32_e32 v4, 0x5f7ffffc, v4
	v_mul_f32_e32 v7, 0x2f800000, v4
	v_trunc_f32_e32 v7, v7
	v_mac_f32_e32 v4, 0xcf800000, v7
	v_cvt_u32_f32_e32 v7, v7
	v_cvt_u32_f32_e32 v4, v4
	v_mul_lo_u32 v8, s0, v7
	v_mul_hi_u32 v9, s0, v4
	v_mul_lo_u32 v11, s1, v4
	v_mul_lo_u32 v10, s0, v4
	v_add_u32_e32 v8, v9, v8
	v_add_u32_e32 v8, v8, v11
	v_mul_hi_u32 v9, v4, v10
	v_mul_lo_u32 v11, v4, v8
	v_mul_hi_u32 v13, v4, v8
	v_mul_hi_u32 v12, v7, v10
	v_mul_lo_u32 v10, v7, v10
	v_mul_hi_u32 v14, v7, v8
	v_add_co_u32_e32 v9, vcc, v9, v11
	v_addc_co_u32_e32 v11, vcc, 0, v13, vcc
	v_mul_lo_u32 v8, v7, v8
	v_add_co_u32_e32 v9, vcc, v9, v10
	v_addc_co_u32_e32 v9, vcc, v11, v12, vcc
	v_addc_co_u32_e32 v10, vcc, 0, v14, vcc
	v_add_co_u32_e32 v8, vcc, v9, v8
	v_addc_co_u32_e32 v9, vcc, 0, v10, vcc
	v_add_co_u32_e32 v4, vcc, v4, v8
	v_addc_co_u32_e32 v7, vcc, v7, v9, vcc
	v_mul_lo_u32 v8, s0, v7
	v_mul_hi_u32 v9, s0, v4
	v_mul_lo_u32 v10, s1, v4
	v_mul_lo_u32 v11, s0, v4
	v_add_u32_e32 v8, v9, v8
	v_add_u32_e32 v8, v8, v10
	v_mul_lo_u32 v12, v4, v8
	v_mul_hi_u32 v13, v4, v11
	v_mul_hi_u32 v14, v4, v8
	v_mul_hi_u32 v10, v7, v11
	v_mul_lo_u32 v11, v7, v11
	v_mul_hi_u32 v9, v7, v8
	v_add_co_u32_e32 v12, vcc, v13, v12
	v_addc_co_u32_e32 v13, vcc, 0, v14, vcc
	v_mul_lo_u32 v8, v7, v8
	v_add_co_u32_e32 v11, vcc, v12, v11
	v_addc_co_u32_e32 v10, vcc, v13, v10, vcc
	v_addc_co_u32_e32 v9, vcc, 0, v9, vcc
	v_add_co_u32_e32 v8, vcc, v10, v8
	v_addc_co_u32_e32 v9, vcc, 0, v9, vcc
	v_add_co_u32_e32 v4, vcc, v4, v8
	v_addc_co_u32_e32 v9, vcc, v7, v9, vcc
	v_mad_u64_u32 v[7:8], s[0:1], v5, v9, 0
	v_mul_hi_u32 v10, v5, v4
	v_add_co_u32_e32 v11, vcc, v10, v7
	v_addc_co_u32_e32 v12, vcc, 0, v8, vcc
	v_mad_u64_u32 v[7:8], s[0:1], v6, v4, 0
	v_mad_u64_u32 v[9:10], s[0:1], v6, v9, 0
	v_add_co_u32_e32 v4, vcc, v11, v7
	v_addc_co_u32_e32 v4, vcc, v12, v8, vcc
	v_addc_co_u32_e32 v7, vcc, 0, v10, vcc
	v_add_co_u32_e32 v4, vcc, v4, v9
	v_addc_co_u32_e32 v9, vcc, 0, v7, vcc
	v_mul_lo_u32 v10, s25, v4
	v_mul_lo_u32 v11, s24, v9
	v_mad_u64_u32 v[7:8], s[0:1], s24, v4, 0
	v_add3_u32 v8, v8, v11, v10
	v_sub_u32_e32 v10, v6, v8
	v_mov_b32_e32 v11, s25
	v_sub_co_u32_e32 v7, vcc, v5, v7
	v_subb_co_u32_e64 v10, s[0:1], v10, v11, vcc
	v_subrev_co_u32_e64 v11, s[0:1], s24, v7
	v_subbrev_co_u32_e64 v10, s[0:1], 0, v10, s[0:1]
	v_cmp_le_u32_e64 s[0:1], s25, v10
	v_cndmask_b32_e64 v12, 0, -1, s[0:1]
	v_cmp_le_u32_e64 s[0:1], s24, v11
	v_cndmask_b32_e64 v11, 0, -1, s[0:1]
	v_cmp_eq_u32_e64 s[0:1], s25, v10
	v_cndmask_b32_e64 v10, v12, v11, s[0:1]
	v_add_co_u32_e64 v11, s[0:1], 2, v4
	v_addc_co_u32_e64 v12, s[0:1], 0, v9, s[0:1]
	v_add_co_u32_e64 v13, s[0:1], 1, v4
	v_addc_co_u32_e64 v14, s[0:1], 0, v9, s[0:1]
	v_subb_co_u32_e32 v8, vcc, v6, v8, vcc
	v_cmp_ne_u32_e64 s[0:1], 0, v10
	v_cmp_le_u32_e32 vcc, s25, v8
	v_cndmask_b32_e64 v10, v14, v12, s[0:1]
	v_cndmask_b32_e64 v12, 0, -1, vcc
	v_cmp_le_u32_e32 vcc, s24, v7
	v_cndmask_b32_e64 v7, 0, -1, vcc
	v_cmp_eq_u32_e32 vcc, s25, v8
	v_cndmask_b32_e32 v7, v12, v7, vcc
	v_cmp_ne_u32_e32 vcc, 0, v7
	v_cndmask_b32_e64 v7, v13, v11, s[0:1]
	v_cndmask_b32_e32 v51, v9, v10, vcc
	v_cndmask_b32_e32 v50, v4, v7, vcc
.LBB0_4:                                ;   in Loop: Header=BB0_2 Depth=1
	s_andn2_saveexec_b64 s[0:1], s[26:27]
	s_cbranch_execz .LBB0_6
; %bb.5:                                ;   in Loop: Header=BB0_2 Depth=1
	v_cvt_f32_u32_e32 v4, s24
	s_sub_i32 s26, 0, s24
	v_mov_b32_e32 v51, v3
	v_rcp_iflag_f32_e32 v4, v4
	v_mul_f32_e32 v4, 0x4f7ffffe, v4
	v_cvt_u32_f32_e32 v4, v4
	v_mul_lo_u32 v7, s26, v4
	v_mul_hi_u32 v7, v4, v7
	v_add_u32_e32 v4, v4, v7
	v_mul_hi_u32 v4, v5, v4
	v_mul_lo_u32 v7, v4, s24
	v_add_u32_e32 v8, 1, v4
	v_sub_u32_e32 v7, v5, v7
	v_subrev_u32_e32 v9, s24, v7
	v_cmp_le_u32_e32 vcc, s24, v7
	v_cndmask_b32_e32 v7, v7, v9, vcc
	v_cndmask_b32_e32 v4, v4, v8, vcc
	v_add_u32_e32 v8, 1, v4
	v_cmp_le_u32_e32 vcc, s24, v7
	v_cndmask_b32_e32 v50, v4, v8, vcc
.LBB0_6:                                ;   in Loop: Header=BB0_2 Depth=1
	s_or_b64 exec, exec, s[0:1]
	v_mul_lo_u32 v4, v51, s24
	v_mul_lo_u32 v9, v50, s25
	v_mad_u64_u32 v[7:8], s[0:1], v50, s24, 0
	s_load_dwordx2 s[0:1], s[6:7], 0x0
	s_load_dwordx2 s[24:25], s[2:3], 0x0
	v_add3_u32 v4, v8, v9, v4
	v_sub_co_u32_e32 v5, vcc, v5, v7
	v_subb_co_u32_e32 v4, vcc, v6, v4, vcc
	s_waitcnt lgkmcnt(0)
	v_mul_lo_u32 v6, s0, v4
	v_mul_lo_u32 v7, s1, v5
	v_mad_u64_u32 v[1:2], s[0:1], s0, v5, v[1:2]
	v_mul_lo_u32 v4, s24, v4
	v_mul_lo_u32 v8, s25, v5
	v_mad_u64_u32 v[48:49], s[0:1], s24, v5, v[48:49]
	s_add_u32 s22, s22, 1
	s_addc_u32 s23, s23, 0
	s_add_u32 s2, s2, 8
	v_add3_u32 v49, v8, v49, v4
	s_addc_u32 s3, s3, 0
	v_mov_b32_e32 v4, s14
	s_add_u32 s6, s6, 8
	v_mov_b32_e32 v5, s15
	s_addc_u32 s7, s7, 0
	v_cmp_ge_u64_e32 vcc, s[22:23], v[4:5]
	s_add_u32 s20, s20, 8
	v_add3_u32 v2, v7, v2, v6
	s_addc_u32 s21, s21, 0
	s_cbranch_vccnz .LBB0_9
; %bb.7:                                ;   in Loop: Header=BB0_2 Depth=1
	v_mov_b32_e32 v5, v50
	v_mov_b32_e32 v6, v51
	s_branch .LBB0_2
.LBB0_8:
	v_mov_b32_e32 v49, v2
	v_mov_b32_e32 v51, v6
	;; [unrolled: 1-line block ×4, first 2 shown]
.LBB0_9:
	s_load_dwordx2 s[2:3], s[4:5], 0x28
	s_lshl_b64 s[6:7], s[14:15], 3
	s_add_u32 s4, s18, s6
	s_addc_u32 s5, s19, s7
                                        ; implicit-def: $vgpr52
	s_waitcnt lgkmcnt(0)
	v_cmp_gt_u64_e64 s[0:1], s[2:3], v[50:51]
	v_cmp_le_u64_e32 vcc, s[2:3], v[50:51]
	s_and_saveexec_b64 s[2:3], vcc
	s_xor_b64 s[2:3], exec, s[2:3]
; %bb.10:
	s_mov_b32 s14, 0x16c16c2
	v_mul_hi_u32 v1, v0, s14
	v_mul_u32_u24_e32 v1, 0xb4, v1
	v_sub_u32_e32 v52, v0, v1
                                        ; implicit-def: $vgpr0
                                        ; implicit-def: $vgpr1_vgpr2
; %bb.11:
	s_or_saveexec_b64 s[2:3], s[2:3]
	s_load_dwordx2 s[4:5], s[4:5], 0x0
	s_xor_b64 exec, exec, s[2:3]
	s_cbranch_execz .LBB0_15
; %bb.12:
	s_add_u32 s6, s16, s6
	s_addc_u32 s7, s17, s7
	s_load_dwordx2 s[6:7], s[6:7], 0x0
	s_mov_b32 s14, 0x16c16c2
	v_mul_hi_u32 v5, v0, s14
	v_lshlrev_b64 v[1:2], 4, v[1:2]
	s_waitcnt lgkmcnt(0)
	v_mul_lo_u32 v6, s7, v50
	v_mul_lo_u32 v7, s6, v51
	v_mad_u64_u32 v[3:4], s[6:7], s6, v50, 0
	v_mul_u32_u24_e32 v5, 0xb4, v5
	v_sub_u32_e32 v52, v0, v5
	v_add3_u32 v4, v4, v7, v6
	v_lshlrev_b64 v[3:4], 4, v[3:4]
	v_mov_b32_e32 v0, s9
	v_add_co_u32_e32 v3, vcc, s8, v3
	v_addc_co_u32_e32 v0, vcc, v0, v4, vcc
	v_add_co_u32_e32 v1, vcc, v3, v1
	v_addc_co_u32_e32 v0, vcc, v0, v2, vcc
	v_lshlrev_b32_e32 v53, 4, v52
	v_add_co_u32_e32 v26, vcc, v1, v53
	v_addc_co_u32_e32 v27, vcc, 0, v0, vcc
	s_movk_i32 s6, 0x1000
	v_add_co_u32_e32 v18, vcc, s6, v26
	v_addc_co_u32_e32 v19, vcc, 0, v27, vcc
	s_movk_i32 s6, 0x2000
	;; [unrolled: 3-line block ×4, first 2 shown]
	v_add_co_u32_e32 v42, vcc, s6, v26
	v_addc_co_u32_e32 v43, vcc, 0, v27, vcc
	v_add_co_u32_e32 v44, vcc, 0x5000, v26
	v_addc_co_u32_e32 v45, vcc, 0, v27, vcc
	v_add_co_u32_e32 v46, vcc, 0x6000, v26
	global_load_dwordx4 v[2:5], v[26:27], off
	global_load_dwordx4 v[6:9], v[26:27], off offset:2880
	global_load_dwordx4 v[10:13], v[18:19], off offset:1664
	;; [unrolled: 1-line block ×3, first 2 shown]
	s_nop 0
	global_load_dwordx4 v[18:21], v[28:29], off offset:3328
	global_load_dwordx4 v[22:25], v[30:31], off offset:2112
	v_addc_co_u32_e32 v47, vcc, 0, v27, vcc
	global_load_dwordx4 v[26:29], v[42:43], off offset:896
	global_load_dwordx4 v[30:33], v[42:43], off offset:3776
	;; [unrolled: 1-line block ×4, first 2 shown]
	s_movk_i32 s6, 0xb3
	v_add_u32_e32 v42, 0, v53
	v_cmp_eq_u32_e32 vcc, s6, v52
	s_waitcnt vmcnt(9)
	ds_write_b128 v42, v[2:5]
	s_waitcnt vmcnt(8)
	ds_write_b128 v42, v[6:9] offset:2880
	s_waitcnt vmcnt(7)
	ds_write_b128 v42, v[10:13] offset:5760
	;; [unrolled: 2-line block ×9, first 2 shown]
	s_and_saveexec_b64 s[6:7], vcc
	s_cbranch_execz .LBB0_14
; %bb.13:
	v_add_co_u32_e32 v1, vcc, 0x7000, v1
	v_addc_co_u32_e32 v2, vcc, 0, v0, vcc
	global_load_dwordx4 v[0:3], v[1:2], off offset:128
	v_mov_b32_e32 v4, 0
	v_mov_b32_e32 v52, 0xb3
	s_waitcnt vmcnt(0)
	ds_write_b128 v4, v[0:3] offset:28800
.LBB0_14:
	s_or_b64 exec, exec, s[6:7]
.LBB0_15:
	s_or_b64 exec, exec, s[2:3]
	v_lshlrev_b32_e32 v0, 4, v52
	v_add_u32_e32 v55, 0, v0
	s_waitcnt lgkmcnt(0)
	s_barrier
	v_sub_u32_e32 v10, 0, v0
	ds_read_b64 v[6:7], v55
	ds_read_b64 v[8:9], v10 offset:28800
	s_add_u32 s6, s12, 0x6fe0
	s_addc_u32 s7, s13, 0
	v_cmp_ne_u32_e32 vcc, 0, v52
                                        ; implicit-def: $vgpr4_vgpr5
	s_waitcnt lgkmcnt(0)
	v_add_f64 v[0:1], v[6:7], v[8:9]
	v_add_f64 v[2:3], v[6:7], -v[8:9]
	s_and_saveexec_b64 s[2:3], vcc
	s_xor_b64 s[2:3], exec, s[2:3]
	s_cbranch_execz .LBB0_17
; %bb.16:
	v_mov_b32_e32 v53, 0
	v_lshlrev_b64 v[0:1], 4, v[52:53]
	v_mov_b32_e32 v2, s7
	v_add_co_u32_e32 v0, vcc, s6, v0
	v_addc_co_u32_e32 v1, vcc, v2, v1, vcc
	global_load_dwordx4 v[2:5], v[0:1], off
	ds_read_b64 v[0:1], v10 offset:28808
	ds_read_b64 v[11:12], v55 offset:8
	v_add_f64 v[13:14], v[6:7], v[8:9]
	v_add_f64 v[8:9], v[6:7], -v[8:9]
	s_waitcnt lgkmcnt(0)
	v_add_f64 v[15:16], v[0:1], v[11:12]
	v_add_f64 v[0:1], v[11:12], -v[0:1]
	s_waitcnt vmcnt(0)
	v_fma_f64 v[6:7], -v[8:9], v[4:5], v[13:14]
	v_fma_f64 v[11:12], v[15:16], v[4:5], -v[0:1]
	v_fma_f64 v[13:14], v[8:9], v[4:5], v[13:14]
	v_fma_f64 v[17:18], v[15:16], v[4:5], v[0:1]
	v_fma_f64 v[4:5], v[15:16], v[2:3], v[6:7]
	v_fma_f64 v[6:7], v[8:9], v[2:3], v[11:12]
	v_fma_f64 v[0:1], -v[15:16], v[2:3], v[13:14]
	v_fma_f64 v[2:3], v[8:9], v[2:3], v[17:18]
	ds_write_b128 v10, v[4:7] offset:28800
	v_mov_b32_e32 v4, v52
	v_mov_b32_e32 v5, v53
.LBB0_17:
	s_andn2_saveexec_b64 s[2:3], s[2:3]
	s_cbranch_execz .LBB0_19
; %bb.18:
	v_mov_b32_e32 v8, 0
	ds_read_b128 v[4:7], v8 offset:14400
	s_waitcnt lgkmcnt(0)
	v_add_f64 v[11:12], v[4:5], v[4:5]
	v_mul_f64 v[13:14], v[6:7], -2.0
	v_mov_b32_e32 v4, 0
	v_mov_b32_e32 v5, 0
	ds_write_b128 v8, v[11:14] offset:14400
.LBB0_19:
	s_or_b64 exec, exec, s[2:3]
	v_lshlrev_b64 v[4:5], 4, v[4:5]
	v_mov_b32_e32 v6, s7
	v_add_co_u32_e32 v8, vcc, s6, v4
	v_addc_co_u32_e32 v9, vcc, v6, v5, vcc
	global_load_dwordx4 v[4:7], v[8:9], off offset:2880
	s_movk_i32 s2, 0x1000
	v_add_co_u32_e32 v11, vcc, s2, v8
	v_addc_co_u32_e32 v12, vcc, 0, v9, vcc
	global_load_dwordx4 v[11:14], v[11:12], off offset:1664
	s_movk_i32 s2, 0x2000
	v_add_co_u32_e32 v23, vcc, s2, v8
	ds_write_b128 v55, v[0:3]
	v_addc_co_u32_e32 v24, vcc, 0, v9, vcc
	ds_read_b128 v[0:3], v55 offset:2880
	ds_read_b128 v[15:18], v10 offset:25920
	global_load_dwordx4 v[19:22], v[23:24], off offset:448
	s_mov_b32 s2, 0x134454ff
	s_mov_b32 s3, 0x3fee6f0e
	;; [unrolled: 1-line block ×3, first 2 shown]
	s_waitcnt lgkmcnt(0)
	v_add_f64 v[8:9], v[0:1], v[15:16]
	v_add_f64 v[25:26], v[17:18], v[2:3]
	v_add_f64 v[15:16], v[0:1], -v[15:16]
	v_add_f64 v[0:1], v[2:3], -v[17:18]
	s_mov_b32 s14, s2
	s_mov_b32 s6, 0x4755a5e
	;; [unrolled: 1-line block ×9, first 2 shown]
	s_waitcnt vmcnt(2)
	v_fma_f64 v[2:3], v[15:16], v[6:7], v[8:9]
	v_fma_f64 v[17:18], v[25:26], v[6:7], v[0:1]
	v_fma_f64 v[8:9], -v[15:16], v[6:7], v[8:9]
	v_fma_f64 v[27:28], v[25:26], v[6:7], -v[0:1]
	v_fma_f64 v[0:1], -v[25:26], v[4:5], v[2:3]
	v_fma_f64 v[2:3], v[15:16], v[4:5], v[17:18]
	v_fma_f64 v[6:7], v[25:26], v[4:5], v[8:9]
	;; [unrolled: 1-line block ×3, first 2 shown]
	ds_write_b128 v55, v[0:3] offset:2880
	ds_write_b128 v10, v[6:9] offset:25920
	ds_read_b128 v[0:3], v55 offset:5760
	ds_read_b128 v[4:7], v10 offset:23040
	global_load_dwordx4 v[15:18], v[23:24], off offset:3328
	s_waitcnt lgkmcnt(0)
	v_add_f64 v[8:9], v[0:1], v[4:5]
	v_add_f64 v[23:24], v[6:7], v[2:3]
	v_add_f64 v[25:26], v[0:1], -v[4:5]
	v_add_f64 v[0:1], v[2:3], -v[6:7]
	s_waitcnt vmcnt(2)
	v_fma_f64 v[2:3], v[25:26], v[13:14], v[8:9]
	v_fma_f64 v[4:5], v[23:24], v[13:14], v[0:1]
	v_fma_f64 v[6:7], -v[25:26], v[13:14], v[8:9]
	v_fma_f64 v[8:9], v[23:24], v[13:14], -v[0:1]
	v_fma_f64 v[0:1], -v[23:24], v[11:12], v[2:3]
	v_fma_f64 v[2:3], v[25:26], v[11:12], v[4:5]
	v_fma_f64 v[4:5], v[23:24], v[11:12], v[6:7]
	;; [unrolled: 1-line block ×3, first 2 shown]
	ds_write_b128 v55, v[0:3] offset:5760
	ds_write_b128 v10, v[4:7] offset:23040
	ds_read_b128 v[0:3], v55 offset:8640
	ds_read_b128 v[4:7], v10 offset:20160
	s_waitcnt lgkmcnt(0)
	v_add_f64 v[8:9], v[0:1], v[4:5]
	v_add_f64 v[11:12], v[6:7], v[2:3]
	v_add_f64 v[13:14], v[0:1], -v[4:5]
	v_add_f64 v[0:1], v[2:3], -v[6:7]
	s_waitcnt vmcnt(1)
	v_fma_f64 v[2:3], v[13:14], v[21:22], v[8:9]
	v_fma_f64 v[4:5], v[11:12], v[21:22], v[0:1]
	v_fma_f64 v[6:7], -v[13:14], v[21:22], v[8:9]
	v_fma_f64 v[8:9], v[11:12], v[21:22], -v[0:1]
	v_fma_f64 v[0:1], -v[11:12], v[19:20], v[2:3]
	v_fma_f64 v[2:3], v[13:14], v[19:20], v[4:5]
	v_fma_f64 v[4:5], v[11:12], v[19:20], v[6:7]
	;; [unrolled: 1-line block ×3, first 2 shown]
	ds_write_b128 v55, v[0:3] offset:8640
	ds_write_b128 v10, v[4:7] offset:20160
	ds_read_b128 v[0:3], v55 offset:11520
	ds_read_b128 v[4:7], v10 offset:17280
	s_waitcnt lgkmcnt(0)
	v_add_f64 v[8:9], v[0:1], v[4:5]
	v_add_f64 v[11:12], v[6:7], v[2:3]
	v_add_f64 v[13:14], v[0:1], -v[4:5]
	v_add_f64 v[0:1], v[2:3], -v[6:7]
	s_waitcnt vmcnt(0)
	v_fma_f64 v[2:3], v[13:14], v[17:18], v[8:9]
	v_fma_f64 v[4:5], v[11:12], v[17:18], v[0:1]
	v_fma_f64 v[6:7], -v[13:14], v[17:18], v[8:9]
	v_fma_f64 v[8:9], v[11:12], v[17:18], -v[0:1]
	v_fma_f64 v[0:1], -v[11:12], v[15:16], v[2:3]
	v_fma_f64 v[2:3], v[13:14], v[15:16], v[4:5]
	v_fma_f64 v[4:5], v[11:12], v[15:16], v[6:7]
	;; [unrolled: 1-line block ×3, first 2 shown]
	ds_write_b128 v55, v[0:3] offset:11520
	ds_write_b128 v10, v[4:7] offset:17280
	s_waitcnt lgkmcnt(0)
	s_barrier
	s_barrier
	ds_read_b128 v[0:3], v55
	ds_read_b128 v[4:7], v55 offset:2880
	ds_read_b128 v[8:11], v55 offset:5760
	ds_read_b128 v[12:15], v55 offset:8640
	ds_read_b128 v[16:19], v55 offset:11520
	ds_read_b128 v[20:23], v55 offset:14400
	ds_read_b128 v[24:27], v55 offset:17280
	ds_read_b128 v[28:31], v55 offset:23040
	ds_read_b128 v[32:35], v55 offset:20160
	ds_read_b128 v[36:39], v55 offset:25920
	s_waitcnt lgkmcnt(7)
	v_add_f64 v[40:41], v[0:1], v[8:9]
	s_waitcnt lgkmcnt(3)
	v_add_f64 v[42:43], v[16:17], v[24:25]
	v_add_f64 v[53:54], v[8:9], -v[16:17]
	s_waitcnt lgkmcnt(2)
	v_add_f64 v[56:57], v[28:29], -v[24:25]
	v_add_f64 v[58:59], v[8:9], v[28:29]
	v_add_f64 v[60:61], v[16:17], -v[8:9]
	v_add_f64 v[62:63], v[24:25], -v[28:29]
	v_add_f64 v[66:67], v[18:19], v[26:27]
	v_add_f64 v[74:75], v[10:11], v[30:31]
	;; [unrolled: 1-line block ×3, first 2 shown]
	s_waitcnt lgkmcnt(1)
	v_add_f64 v[80:81], v[20:21], v[32:33]
	v_add_f64 v[64:65], v[2:3], v[10:11]
	s_waitcnt lgkmcnt(0)
	v_add_f64 v[90:91], v[12:13], v[36:37]
	v_add_f64 v[98:99], v[22:23], v[34:35]
	;; [unrolled: 1-line block ×4, first 2 shown]
	v_add_f64 v[44:45], v[10:11], -v[30:31]
	v_add_f64 v[46:47], v[18:19], -v[26:27]
	;; [unrolled: 1-line block ×9, first 2 shown]
	v_add_f64 v[16:17], v[40:41], v[16:17]
	v_fma_f64 v[40:41], v[42:43], -0.5, v[0:1]
	v_add_f64 v[42:43], v[53:54], v[56:57]
	v_fma_f64 v[0:1], v[58:59], -0.5, v[0:1]
	;; [unrolled: 2-line block ×3, first 2 shown]
	v_fma_f64 v[2:3], v[74:75], -0.5, v[2:3]
	v_add_f64 v[20:21], v[78:79], v[20:21]
	v_fma_f64 v[60:61], v[80:81], -0.5, v[4:5]
	v_add_f64 v[8:9], v[8:9], -v[28:29]
	v_add_f64 v[10:11], v[18:19], -v[10:11]
	;; [unrolled: 1-line block ×4, first 2 shown]
	v_add_f64 v[18:19], v[64:65], v[18:19]
	v_fma_f64 v[4:5], v[90:91], -0.5, v[4:5]
	v_fma_f64 v[66:67], v[98:99], -0.5, v[6:7]
	v_fma_f64 v[6:7], v[106:107], -0.5, v[6:7]
	v_add_f64 v[12:13], v[12:13], -v[36:37]
	v_add_f64 v[102:103], v[14:15], -v[22:23]
	;; [unrolled: 1-line block ×3, first 2 shown]
	v_add_f64 v[22:23], v[96:97], v[22:23]
	v_add_f64 v[88:89], v[36:37], -v[32:33]
	v_add_f64 v[94:95], v[32:33], -v[36:37]
	v_add_f64 v[58:59], v[70:71], v[72:73]
	v_add_f64 v[16:17], v[16:17], v[24:25]
	v_fma_f64 v[24:25], v[44:45], s[2:3], v[40:41]
	v_fma_f64 v[40:41], v[44:45], s[14:15], v[40:41]
	;; [unrolled: 1-line block ×6, first 2 shown]
	v_add_f64 v[20:21], v[20:21], v[32:33]
	v_fma_f64 v[32:33], v[82:83], s[2:3], v[60:61]
	v_add_f64 v[108:109], v[34:35], -v[38:39]
	v_add_f64 v[10:11], v[10:11], v[76:77]
	v_add_f64 v[18:19], v[18:19], v[26:27]
	v_fma_f64 v[26:27], v[8:9], s[14:15], v[56:57]
	v_fma_f64 v[76:77], v[84:85], s[14:15], v[4:5]
	;; [unrolled: 1-line block ×5, first 2 shown]
	v_add_f64 v[104:105], v[38:39], -v[34:35]
	v_fma_f64 v[60:61], v[82:83], s[14:15], v[60:61]
	v_add_f64 v[22:23], v[22:23], v[34:35]
	v_fma_f64 v[34:35], v[12:13], s[14:15], v[66:67]
	v_fma_f64 v[66:67], v[12:13], s[2:3], v[66:67]
	v_add_f64 v[62:63], v[86:87], v[88:89]
	v_fma_f64 v[56:57], v[8:9], s[2:3], v[56:57]
	v_add_f64 v[16:17], v[16:17], v[28:29]
	v_fma_f64 v[28:29], v[46:47], s[16:17], v[40:41]
	v_fma_f64 v[40:41], v[44:45], s[6:7], v[72:73]
	;; [unrolled: 1-line block ×5, first 2 shown]
	v_add_f64 v[8:9], v[20:21], v[36:37]
	v_fma_f64 v[20:21], v[84:85], s[6:7], v[32:33]
	v_add_f64 v[64:65], v[92:93], v[94:95]
	v_add_f64 v[14:15], v[14:15], v[108:109]
	v_fma_f64 v[24:25], v[46:47], s[6:7], v[24:25]
	v_fma_f64 v[26:27], v[68:69], s[16:17], v[26:27]
	;; [unrolled: 1-line block ×6, first 2 shown]
	v_add_f64 v[70:71], v[102:103], v[104:105]
	v_fma_f64 v[32:33], v[84:85], s[16:17], v[60:61]
	v_add_f64 v[38:39], v[22:23], v[38:39]
	v_fma_f64 v[22:23], v[100:101], s[16:17], v[34:35]
	v_fma_f64 v[34:35], v[100:101], s[6:7], v[66:67]
	;; [unrolled: 1-line block ×5, first 2 shown]
	v_add_f64 v[18:19], v[18:19], v[30:31]
	v_fma_f64 v[30:31], v[68:69], s[6:7], v[56:57]
	v_fma_f64 v[12:13], v[42:43], s[8:9], v[24:25]
	;; [unrolled: 1-line block ×11, first 2 shown]
	v_mul_f64 v[14:15], v[10:11], s[18:19]
	v_mul_f64 v[10:11], v[10:11], s[16:17]
	v_fma_f64 v[58:59], v[58:59], s[8:9], v[30:31]
	v_mul_f64 v[30:31], v[26:27], s[2:3]
	v_mul_f64 v[36:37], v[24:25], s[14:15]
	;; [unrolled: 1-line block ×6, first 2 shown]
	v_fma_f64 v[14:15], v[22:23], s[6:7], v[14:15]
	v_fma_f64 v[10:11], v[22:23], s[18:19], v[10:11]
	;; [unrolled: 1-line block ×6, first 2 shown]
	v_fma_f64 v[6:7], v[6:7], s[2:3], -v[32:33]
	v_fma_f64 v[46:47], v[4:5], s[14:15], -v[46:47]
	;; [unrolled: 1-line block ×4, first 2 shown]
	v_add_f64 v[0:1], v[16:17], v[8:9]
	v_add_f64 v[2:3], v[18:19], v[38:39]
	;; [unrolled: 1-line block ×10, first 2 shown]
	v_add_f64 v[36:37], v[16:17], -v[8:9]
	v_add_f64 v[38:39], v[18:19], -v[38:39]
	;; [unrolled: 1-line block ×4, first 2 shown]
	s_movk_i32 s2, 0x90
	v_add_f64 v[4:5], v[40:41], -v[64:65]
	v_add_f64 v[12:13], v[53:54], -v[6:7]
	;; [unrolled: 1-line block ×3, first 2 shown]
	v_mad_u32_u24 v40, v52, s2, v55
	v_add_f64 v[16:17], v[42:43], -v[66:67]
	v_add_f64 v[14:15], v[60:61], -v[46:47]
	;; [unrolled: 1-line block ×3, first 2 shown]
	s_barrier
	ds_write_b128 v40, v[0:3]
	ds_write_b128 v40, v[20:23] offset:16
	ds_write_b128 v40, v[24:27] offset:32
	;; [unrolled: 1-line block ×9, first 2 shown]
	s_waitcnt lgkmcnt(0)
	s_barrier
	ds_read_b128 v[0:3], v55
	ds_read_b128 v[36:39], v55 offset:4800
	ds_read_b128 v[32:35], v55 offset:9600
	;; [unrolled: 1-line block ×5, first 2 shown]
	s_movk_i32 s2, 0x78
	v_cmp_gt_u32_e32 vcc, s2, v52
                                        ; implicit-def: $vgpr46_vgpr47
                                        ; implicit-def: $vgpr42_vgpr43
	s_and_saveexec_b64 s[2:3], vcc
	s_cbranch_execz .LBB0_21
; %bb.20:
	ds_read_b128 v[8:11], v55 offset:2880
	ds_read_b128 v[4:7], v55 offset:7680
	;; [unrolled: 1-line block ×6, first 2 shown]
.LBB0_21:
	s_or_b64 exec, exec, s[2:3]
	s_movk_i32 s2, 0xcd
	v_mul_lo_u16_sdwa v53, v52, s2 dst_sel:DWORD dst_unused:UNUSED_PAD src0_sel:BYTE_0 src1_sel:DWORD
	v_lshrrev_b16_e32 v53, 11, v53
	v_mul_lo_u16_e32 v54, 10, v53
	v_sub_u16_e32 v54, v52, v54
	v_mov_b32_e32 v56, 5
	v_mul_u32_u24_sdwa v56, v54, v56 dst_sel:DWORD dst_unused:UNUSED_PAD src0_sel:BYTE_0 src1_sel:DWORD
	v_lshlrev_b32_e32 v75, 4, v56
	v_add_u32_e32 v56, 0xb4, v52
	s_mov_b32 s2, 0xcccd
	global_load_dwordx4 v[59:62], v75, s[12:13]
	global_load_dwordx4 v[63:66], v75, s[12:13] offset:16
	global_load_dwordx4 v[67:70], v75, s[12:13] offset:32
	;; [unrolled: 1-line block ×3, first 2 shown]
	v_mul_u32_u24_sdwa v57, v56, s2 dst_sel:DWORD dst_unused:UNUSED_PAD src0_sel:WORD_0 src1_sel:DWORD
	v_lshrrev_b32_e32 v58, 19, v57
	v_mul_lo_u16_e32 v57, 10, v58
	v_sub_u16_e32 v57, v56, v57
	v_mul_u32_u24_e32 v79, 5, v57
	v_lshlrev_b32_e32 v99, 4, v79
	global_load_dwordx4 v[75:78], v75, s[12:13] offset:64
	s_nop 0
	global_load_dwordx4 v[79:82], v99, s[12:13]
	global_load_dwordx4 v[83:86], v99, s[12:13] offset:16
	global_load_dwordx4 v[87:90], v99, s[12:13] offset:32
	;; [unrolled: 1-line block ×4, first 2 shown]
	s_mov_b32 s2, 0xe8584caa
	s_mov_b32 s3, 0x3febb67a
	;; [unrolled: 1-line block ×4, first 2 shown]
	s_waitcnt vmcnt(0) lgkmcnt(0)
	s_barrier
	v_mul_f64 v[99:100], v[38:39], v[61:62]
	v_mul_f64 v[61:62], v[36:37], v[61:62]
	v_mul_f64 v[101:102], v[34:35], v[65:66]
	v_mul_f64 v[65:66], v[32:33], v[65:66]
	v_mul_f64 v[103:104], v[30:31], v[69:70]
	v_mul_f64 v[69:70], v[28:29], v[69:70]
	v_mul_f64 v[105:106], v[26:27], v[73:74]
	v_mul_f64 v[73:74], v[24:25], v[73:74]
	v_mul_f64 v[111:112], v[14:15], v[85:86]
	v_mul_f64 v[85:86], v[12:13], v[85:86]
	v_mul_f64 v[107:108], v[22:23], v[77:78]
	v_mul_f64 v[77:78], v[20:21], v[77:78]
	v_fma_f64 v[36:37], v[36:37], v[59:60], -v[99:100]
	v_fma_f64 v[38:39], v[38:39], v[59:60], v[61:62]
	v_mul_f64 v[59:60], v[18:19], v[89:90]
	v_mul_f64 v[61:62], v[16:17], v[89:90]
	v_mul_f64 v[89:90], v[42:43], v[93:94]
	v_mul_f64 v[93:94], v[40:41], v[93:94]
	v_fma_f64 v[32:33], v[32:33], v[63:64], -v[101:102]
	v_fma_f64 v[34:35], v[34:35], v[63:64], v[65:66]
	v_mul_f64 v[63:64], v[46:47], v[97:98]
	v_mul_f64 v[65:66], v[44:45], v[97:98]
	;; [unrolled: 1-line block ×4, first 2 shown]
	v_fma_f64 v[97:98], v[28:29], v[67:68], -v[103:104]
	v_fma_f64 v[67:68], v[30:31], v[67:68], v[69:70]
	v_fma_f64 v[69:70], v[24:25], v[71:72], -v[105:106]
	v_fma_f64 v[71:72], v[26:27], v[71:72], v[73:74]
	;; [unrolled: 2-line block ×8, first 2 shown]
	v_add_f64 v[4:5], v[0:1], v[32:33]
	v_add_f64 v[6:7], v[32:33], v[69:70]
	v_add_f64 v[40:41], v[34:35], -v[71:72]
	v_add_f64 v[42:43], v[2:3], v[34:35]
	v_add_f64 v[34:35], v[34:35], v[71:72]
	;; [unrolled: 1-line block ×5, first 2 shown]
	v_add_f64 v[61:62], v[67:68], -v[75:76]
	v_add_f64 v[63:64], v[38:39], v[67:68]
	v_add_f64 v[67:68], v[22:23], v[12:13]
	;; [unrolled: 1-line block ×5, first 2 shown]
	v_add_f64 v[32:33], v[32:33], -v[69:70]
	v_add_f64 v[65:66], v[97:98], -v[73:74]
	;; [unrolled: 1-line block ×6, first 2 shown]
	v_fma_f64 v[38:39], v[44:45], -0.5, v[38:39]
	v_fma_f64 v[36:37], v[46:47], -0.5, v[36:37]
	;; [unrolled: 1-line block ×4, first 2 shown]
	v_add_f64 v[4:5], v[4:5], v[69:70]
	v_add_f64 v[6:7], v[42:43], v[71:72]
	;; [unrolled: 1-line block ×4, first 2 shown]
	v_fma_f64 v[44:45], v[67:68], -0.5, v[8:9]
	v_fma_f64 v[46:47], v[79:80], -0.5, v[10:11]
	;; [unrolled: 1-line block ×4, first 2 shown]
	v_fma_f64 v[71:72], v[65:66], s[6:7], v[38:39]
	v_fma_f64 v[73:74], v[61:62], s[2:3], v[36:37]
	;; [unrolled: 1-line block ×6, first 2 shown]
	v_add_f64 v[59:60], v[4:5], v[34:35]
	v_add_f64 v[61:62], v[6:7], v[42:43]
	v_add_f64 v[63:64], v[4:5], -v[34:35]
	v_add_f64 v[65:66], v[6:7], -v[42:43]
	v_fma_f64 v[32:33], v[77:78], s[2:3], v[44:45]
	v_fma_f64 v[34:35], v[77:78], s[6:7], v[44:45]
	;; [unrolled: 1-line block ×10, first 2 shown]
	v_mul_f64 v[40:41], v[71:72], s[2:3]
	v_mul_f64 v[42:43], v[73:74], s[6:7]
	v_mul_f64 v[67:68], v[75:76], -0.5
	v_mul_f64 v[69:70], v[79:80], -0.5
	v_mul_f64 v[77:78], v[4:5], s[2:3]
	v_mul_f64 v[81:82], v[6:7], s[6:7]
	v_mul_f64 v[89:90], v[46:47], -0.5
	v_mul_f64 v[91:92], v[44:45], -0.5
	v_fma_f64 v[73:74], v[73:74], 0.5, v[40:41]
	v_fma_f64 v[85:86], v[71:72], 0.5, v[42:43]
	v_fma_f64 v[79:80], v[79:80], s[2:3], v[67:68]
	v_fma_f64 v[93:94], v[75:76], s[6:7], v[69:70]
	v_fma_f64 v[40:41], v[6:7], 0.5, v[77:78]
	v_fma_f64 v[42:43], v[4:5], 0.5, v[81:82]
	v_fma_f64 v[44:45], v[44:45], s[2:3], v[89:90]
	v_fma_f64 v[46:47], v[46:47], s[6:7], v[91:92]
	v_add_f64 v[67:68], v[83:84], v[73:74]
	v_add_f64 v[69:70], v[87:88], v[85:86]
	;; [unrolled: 1-line block ×4, first 2 shown]
	v_add_f64 v[79:80], v[0:1], -v[79:80]
	v_add_f64 v[81:82], v[2:3], -v[93:94]
	;; [unrolled: 1-line block ×8, first 2 shown]
	v_mul_u32_u24_e32 v83, 0x3c0, v53
	v_mov_b32_e32 v53, 4
	v_lshlrev_b32_sdwa v54, v53, v54 dst_sel:DWORD dst_unused:UNUSED_PAD src0_sel:DWORD src1_sel:BYTE_0
	v_add3_u32 v54, 0, v83, v54
	ds_write_b128 v54, v[59:62]
	ds_write_b128 v54, v[67:70] offset:160
	ds_write_b128 v54, v[75:78] offset:320
	;; [unrolled: 1-line block ×5, first 2 shown]
	s_and_saveexec_b64 s[2:3], vcc
	s_cbranch_execz .LBB0_23
; %bb.22:
	v_add_f64 v[10:11], v[10:11], v[28:29]
	v_add_f64 v[26:27], v[26:27], v[30:31]
	;; [unrolled: 1-line block ×12, first 2 shown]
	v_mul_lo_u16_e32 v26, 60, v58
	v_add_f64 v[18:19], v[20:21], -v[22:23]
	v_add_f64 v[22:23], v[20:21], v[22:23]
	v_add_f64 v[20:21], v[24:25], v[16:17]
	v_add_f64 v[16:17], v[24:25], -v[16:17]
	v_lshlrev_b32_e32 v24, 4, v57
	v_lshlrev_b32_e32 v25, 4, v26
	v_add3_u32 v24, 0, v24, v25
	ds_write_b128 v24, v[0:3] offset:640
	ds_write_b128 v24, v[12:15] offset:160
	;; [unrolled: 1-line block ×3, first 2 shown]
	ds_write_b128 v24, v[20:23]
	ds_write_b128 v24, v[16:19] offset:480
	ds_write_b128 v24, v[4:7] offset:800
.LBB0_23:
	s_or_b64 exec, exec, s[2:3]
	s_movk_i32 s2, 0x89
	v_mul_lo_u16_sdwa v8, v52, s2 dst_sel:DWORD dst_unused:UNUSED_PAD src0_sel:BYTE_0 src1_sel:DWORD
	v_lshrrev_b16_e32 v12, 13, v8
	v_mul_lo_u16_e32 v8, 60, v12
	v_sub_u16_e32 v13, v52, v8
	v_mov_b32_e32 v8, 9
	v_mul_u32_u24_sdwa v8, v13, v8 dst_sel:DWORD dst_unused:UNUSED_PAD src0_sel:BYTE_0 src1_sel:DWORD
	v_lshlrev_b32_e32 v46, 4, v8
	s_waitcnt lgkmcnt(0)
	s_barrier
	global_load_dwordx4 v[8:11], v46, s[12:13] offset:800
	global_load_dwordx4 v[14:17], v46, s[12:13] offset:816
	;; [unrolled: 1-line block ×9, first 2 shown]
	ds_read_b128 v[57:60], v55 offset:5760
	ds_read_b128 v[61:64], v55 offset:8640
	;; [unrolled: 1-line block ×3, first 2 shown]
	ds_read_b128 v[69:72], v55
	ds_read_b128 v[73:76], v55 offset:11520
	ds_read_b128 v[77:80], v55 offset:14400
	ds_read_b128 v[81:84], v55 offset:17280
	ds_read_b128 v[85:88], v55 offset:20160
	ds_read_b128 v[89:92], v55 offset:23040
	ds_read_b128 v[93:96], v55 offset:25920
	s_mov_b32 s2, 0x134454ff
	s_mov_b32 s3, 0x3fee6f0e
	;; [unrolled: 1-line block ×6, first 2 shown]
	v_mul_u32_u24_e32 v12, 0x2580, v12
	v_lshlrev_b32_sdwa v13, v53, v13 dst_sel:DWORD dst_unused:UNUSED_PAD src0_sel:DWORD src1_sel:BYTE_0
	v_add3_u32 v12, 0, v12, v13
	s_waitcnt vmcnt(0) lgkmcnt(0)
	s_barrier
	v_cmp_gt_u32_e32 vcc, 60, v52
	v_mul_f64 v[46:47], v[67:68], v[10:11]
	v_mul_f64 v[10:11], v[65:66], v[10:11]
	v_mul_f64 v[97:98], v[59:60], v[16:17]
	v_mul_f64 v[16:17], v[57:58], v[16:17]
	v_mul_f64 v[99:100], v[63:64], v[20:21]
	v_mul_f64 v[20:21], v[61:62], v[20:21]
	v_mul_f64 v[101:102], v[75:76], v[24:25]
	v_mul_f64 v[24:25], v[73:74], v[24:25]
	v_mul_f64 v[103:104], v[79:80], v[28:29]
	v_mul_f64 v[28:29], v[77:78], v[28:29]
	v_mul_f64 v[105:106], v[83:84], v[32:33]
	v_mul_f64 v[32:33], v[81:82], v[32:33]
	v_mul_f64 v[107:108], v[87:88], v[36:37]
	v_mul_f64 v[36:37], v[85:86], v[36:37]
	v_mul_f64 v[109:110], v[89:90], v[40:41]
	v_mul_f64 v[40:41], v[91:92], v[40:41]
	v_mul_f64 v[111:112], v[95:96], v[44:45]
	v_mul_f64 v[44:45], v[93:94], v[44:45]
	v_fma_f64 v[46:47], v[65:66], v[8:9], -v[46:47]
	v_fma_f64 v[8:9], v[67:68], v[8:9], v[10:11]
	v_fma_f64 v[10:11], v[57:58], v[14:15], -v[97:98]
	v_fma_f64 v[14:15], v[59:60], v[14:15], v[16:17]
	;; [unrolled: 2-line block ×9, first 2 shown]
	v_add_f64 v[42:43], v[69:70], v[10:11]
	v_add_f64 v[44:45], v[20:21], v[28:29]
	v_add_f64 v[63:64], v[10:11], -v[20:21]
	v_add_f64 v[77:78], v[71:72], v[14:15]
	v_add_f64 v[65:66], v[36:37], -v[28:29]
	v_add_f64 v[67:68], v[10:11], v[36:37]
	v_add_f64 v[79:80], v[22:23], v[30:31]
	v_add_f64 v[59:60], v[14:15], -v[32:33]
	v_add_f64 v[61:62], v[22:23], -v[30:31]
	;; [unrolled: 1-line block ×7, first 2 shown]
	v_add_f64 v[87:88], v[14:15], v[32:33]
	v_add_f64 v[14:15], v[22:23], -v[14:15]
	v_add_f64 v[93:94], v[24:25], v[57:58]
	v_add_f64 v[20:21], v[42:43], v[20:21]
	;; [unrolled: 1-line block ×3, first 2 shown]
	v_fma_f64 v[44:45], v[44:45], -0.5, v[69:70]
	v_add_f64 v[22:23], v[77:78], v[22:23]
	v_fma_f64 v[65:66], v[67:68], -0.5, v[69:70]
	v_fma_f64 v[69:70], v[79:80], -0.5, v[71:72]
	v_add_f64 v[85:86], v[32:33], -v[30:31]
	v_add_f64 v[89:90], v[30:31], -v[32:33]
	v_add_f64 v[91:92], v[46:47], v[16:17]
	v_add_f64 v[95:96], v[18:19], -v[40:41]
	v_add_f64 v[63:64], v[73:74], v[75:76]
	v_fma_f64 v[71:72], v[87:88], -0.5, v[71:72]
	v_fma_f64 v[73:74], v[93:94], -0.5, v[46:47]
	v_fma_f64 v[77:78], v[59:60], s[2:3], v[44:45]
	v_fma_f64 v[44:45], v[59:60], s[14:15], v[44:45]
	v_add_f64 v[20:21], v[20:21], v[28:29]
	v_fma_f64 v[28:29], v[61:62], s[14:15], v[65:66]
	v_fma_f64 v[65:66], v[61:62], s[2:3], v[65:66]
	v_add_f64 v[22:23], v[22:23], v[30:31]
	v_fma_f64 v[30:31], v[10:11], s[14:15], v[69:70]
	v_fma_f64 v[69:70], v[10:11], s[2:3], v[69:70]
	v_add_f64 v[97:98], v[26:27], -v[34:35]
	v_add_f64 v[99:100], v[16:17], -v[24:25]
	;; [unrolled: 1-line block ×3, first 2 shown]
	v_add_f64 v[103:104], v[16:17], v[38:39]
	v_add_f64 v[67:68], v[83:84], v[85:86]
	;; [unrolled: 1-line block ×3, first 2 shown]
	v_fma_f64 v[79:80], v[81:82], s[2:3], v[71:72]
	v_fma_f64 v[71:72], v[81:82], s[14:15], v[71:72]
	;; [unrolled: 1-line block ×8, first 2 shown]
	v_add_f64 v[36:37], v[20:21], v[36:37]
	v_fma_f64 v[20:21], v[81:82], s[6:7], v[69:70]
	v_add_f64 v[61:62], v[22:23], v[32:33]
	v_fma_f64 v[65:66], v[42:43], s[8:9], v[77:78]
	v_fma_f64 v[44:45], v[42:43], s[8:9], v[44:45]
	;; [unrolled: 1-line block ×6, first 2 shown]
	v_add_f64 v[14:15], v[14:15], v[89:90]
	v_fma_f64 v[67:68], v[67:68], s[8:9], v[20:21]
	v_fma_f64 v[20:21], v[103:104], -0.5, v[46:47]
	v_fma_f64 v[10:11], v[10:11], s[6:7], v[71:72]
	v_add_f64 v[28:29], v[75:76], v[57:58]
	v_fma_f64 v[30:31], v[97:98], s[6:7], v[83:84]
	v_add_f64 v[32:33], v[99:100], v[101:102]
	v_add_f64 v[46:47], v[26:27], v[34:35]
	v_fma_f64 v[69:70], v[14:15], s[8:9], v[22:23]
	v_fma_f64 v[22:23], v[95:96], s[14:15], v[73:74]
	v_add_f64 v[75:76], v[8:9], v[18:19]
	v_fma_f64 v[10:11], v[14:15], s[8:9], v[10:11]
	v_add_f64 v[73:74], v[28:29], v[38:39]
	v_add_f64 v[14:15], v[18:19], v[40:41]
	v_fma_f64 v[28:29], v[32:33], s[8:9], v[30:31]
	v_fma_f64 v[30:31], v[46:47], -0.5, v[8:9]
	v_add_f64 v[46:47], v[16:17], -v[38:39]
	v_add_f64 v[77:78], v[24:25], -v[57:58]
	v_add_f64 v[75:76], v[75:76], v[26:27]
	v_fma_f64 v[71:72], v[97:98], s[14:15], v[20:21]
	v_fma_f64 v[20:21], v[97:98], s[2:3], v[20:21]
	v_fma_f64 v[8:9], v[14:15], -0.5, v[8:9]
	v_add_f64 v[14:15], v[24:25], -v[16:17]
	v_add_f64 v[16:17], v[57:58], -v[38:39]
	v_fma_f64 v[24:25], v[46:47], s[14:15], v[30:31]
	v_add_f64 v[38:39], v[18:19], -v[26:27]
	v_add_f64 v[57:58], v[40:41], -v[34:35]
	;; [unrolled: 1-line block ×4, first 2 shown]
	v_fma_f64 v[30:31], v[46:47], s[2:3], v[30:31]
	v_fma_f64 v[79:80], v[77:78], s[2:3], v[8:9]
	;; [unrolled: 1-line block ×5, first 2 shown]
	v_add_f64 v[38:39], v[38:39], v[57:58]
	v_fma_f64 v[71:72], v[95:96], s[6:7], v[71:72]
	v_add_f64 v[18:19], v[18:19], v[26:27]
	v_add_f64 v[26:27], v[75:76], v[34:35]
	v_fma_f64 v[30:31], v[77:78], s[6:7], v[30:31]
	v_add_f64 v[14:15], v[14:15], v[16:17]
	v_fma_f64 v[16:17], v[95:96], s[16:17], v[20:21]
	v_fma_f64 v[20:21], v[46:47], s[16:17], v[79:80]
	;; [unrolled: 1-line block ×5, first 2 shown]
	v_add_f64 v[40:41], v[26:27], v[40:41]
	v_fma_f64 v[26:27], v[38:39], s[8:9], v[30:31]
	v_fma_f64 v[32:33], v[14:15], s[8:9], v[71:72]
	;; [unrolled: 1-line block ×4, first 2 shown]
	v_mul_f64 v[30:31], v[24:25], s[6:7]
	v_fma_f64 v[8:9], v[18:19], s[8:9], v[8:9]
	v_mul_f64 v[38:39], v[22:23], s[18:19]
	v_add_f64 v[14:15], v[36:37], v[73:74]
	v_mul_f64 v[71:72], v[26:27], s[18:19]
	v_mul_f64 v[34:35], v[16:17], s[8:9]
	;; [unrolled: 1-line block ×3, first 2 shown]
	v_fma_f64 v[46:47], v[28:29], s[18:19], v[30:31]
	v_mul_f64 v[28:29], v[28:29], s[16:17]
	v_mul_f64 v[30:31], v[32:33], s[14:15]
	;; [unrolled: 1-line block ×3, first 2 shown]
	v_fma_f64 v[77:78], v[26:27], s[6:7], -v[38:39]
	v_fma_f64 v[71:72], v[22:23], s[16:17], -v[71:72]
	;; [unrolled: 1-line block ×3, first 2 shown]
	v_fma_f64 v[75:76], v[32:33], s[8:9], v[18:19]
	v_add_f64 v[18:19], v[65:66], v[46:47]
	v_fma_f64 v[79:80], v[24:25], s[18:19], v[28:29]
	v_fma_f64 v[81:82], v[20:21], s[8:9], v[30:31]
	v_fma_f64 v[83:84], v[16:17], s[14:15], -v[57:58]
	v_add_f64 v[16:17], v[61:62], v[40:41]
	v_add_f64 v[30:31], v[44:45], v[77:78]
	;; [unrolled: 1-line block ×8, first 2 shown]
	v_add_f64 v[34:35], v[36:37], -v[73:74]
	v_add_f64 v[36:37], v[61:62], -v[40:41]
	;; [unrolled: 1-line block ×10, first 2 shown]
	ds_write_b128 v12, v[14:17]
	ds_write_b128 v12, v[18:21] offset:960
	ds_write_b128 v12, v[22:25] offset:1920
	;; [unrolled: 1-line block ×9, first 2 shown]
	s_waitcnt lgkmcnt(0)
	s_barrier
	ds_read_b128 v[16:19], v55
	ds_read_b128 v[12:15], v55 offset:2880
	ds_read_b128 v[32:35], v55 offset:19200
	;; [unrolled: 1-line block ×8, first 2 shown]
	s_and_saveexec_b64 s[2:3], vcc
	s_cbranch_execz .LBB0_25
; %bb.24:
	ds_read_b128 v[8:11], v55 offset:8640
	ds_read_b128 v[0:3], v55 offset:18240
	;; [unrolled: 1-line block ×3, first 2 shown]
.LBB0_25:
	s_or_b64 exec, exec, s[2:3]
	v_lshlrev_b32_e32 v53, 1, v52
	v_mov_b32_e32 v54, 0
	v_lshlrev_b64 v[57:58], 4, v[53:54]
	v_mov_b32_e32 v77, s13
	v_add_co_u32_e64 v57, s[2:3], s12, v57
	v_addc_co_u32_e64 v58, s[2:3], v77, v58, s[2:3]
	s_movk_i32 s6, 0x24e0
	v_add_co_u32_e64 v65, s[2:3], s6, v57
	v_addc_co_u32_e64 v66, s[2:3], 0, v58, s[2:3]
	s_movk_i32 s14, 0x2000
	v_add_co_u32_e64 v67, s[2:3], s14, v57
	v_addc_co_u32_e64 v68, s[2:3], 0, v58, s[2:3]
	global_load_dwordx4 v[57:60], v[67:68], off offset:1248
	global_load_dwordx4 v[61:64], v[65:66], off offset:16
	v_lshlrev_b32_e32 v65, 1, v56
	v_mov_b32_e32 v66, v54
	v_lshlrev_b64 v[65:66], 4, v[65:66]
	v_add_u32_e32 v53, 0x2d0, v53
	v_add_co_u32_e64 v56, s[2:3], s12, v65
	v_addc_co_u32_e64 v65, s[2:3], v77, v66, s[2:3]
	v_add_co_u32_e64 v73, s[2:3], s6, v56
	v_addc_co_u32_e64 v74, s[2:3], 0, v65, s[2:3]
	;; [unrolled: 2-line block ×3, first 2 shown]
	global_load_dwordx4 v[65:68], v[75:76], off offset:1248
	global_load_dwordx4 v[69:72], v[73:74], off offset:16
	v_lshlrev_b64 v[73:74], 4, v[53:54]
	s_mov_b32 s7, 0xbfebb67a
	v_add_co_u32_e64 v53, s[2:3], s12, v73
	v_addc_co_u32_e64 v56, s[2:3], v77, v74, s[2:3]
	v_add_co_u32_e64 v73, s[2:3], s14, v53
	v_addc_co_u32_e64 v74, s[2:3], 0, v56, s[2:3]
	;; [unrolled: 2-line block ×3, first 2 shown]
	global_load_dwordx4 v[73:76], v[73:74], off offset:1248
	s_mov_b32 s2, 0xe8584caa
	global_load_dwordx4 v[77:80], v[77:78], off offset:16
	s_mov_b32 s3, 0x3febb67a
	s_mov_b32 s6, s2
	s_waitcnt vmcnt(0) lgkmcnt(0)
	s_barrier
	v_mul_f64 v[81:82], v[46:47], v[59:60]
	v_mul_f64 v[59:60], v[44:45], v[59:60]
	;; [unrolled: 1-line block ×4, first 2 shown]
	v_fma_f64 v[44:45], v[44:45], v[57:58], -v[81:82]
	v_fma_f64 v[46:47], v[46:47], v[57:58], v[59:60]
	v_fma_f64 v[32:33], v[32:33], v[61:62], -v[83:84]
	v_fma_f64 v[34:35], v[34:35], v[61:62], v[63:64]
	v_mul_f64 v[85:86], v[42:43], v[67:68]
	v_mul_f64 v[67:68], v[40:41], v[67:68]
	;; [unrolled: 1-line block ×4, first 2 shown]
	v_add_f64 v[62:63], v[18:19], v[46:47]
	v_fma_f64 v[40:41], v[40:41], v[65:66], -v[85:86]
	v_fma_f64 v[42:43], v[42:43], v[65:66], v[67:68]
	v_fma_f64 v[56:57], v[24:25], v[69:70], -v[87:88]
	v_fma_f64 v[58:59], v[26:27], v[69:70], v[71:72]
	v_mul_f64 v[89:90], v[38:39], v[75:76]
	v_mul_f64 v[75:76], v[36:37], v[75:76]
	;; [unrolled: 1-line block ×4, first 2 shown]
	v_add_f64 v[66:67], v[40:41], v[56:57]
	v_add_f64 v[68:69], v[42:43], -v[58:59]
	v_add_f64 v[70:71], v[14:15], v[42:43]
	v_add_f64 v[42:43], v[42:43], v[58:59]
	v_fma_f64 v[24:25], v[36:37], v[73:74], -v[89:90]
	v_fma_f64 v[26:27], v[38:39], v[73:74], v[75:76]
	v_fma_f64 v[28:29], v[28:29], v[77:78], -v[91:92]
	v_fma_f64 v[60:61], v[30:31], v[77:78], v[79:80]
	v_add_f64 v[30:31], v[16:17], v[44:45]
	v_add_f64 v[36:37], v[44:45], v[32:33]
	v_add_f64 v[38:39], v[46:47], -v[34:35]
	v_add_f64 v[46:47], v[46:47], v[34:35]
	v_add_f64 v[44:45], v[44:45], -v[32:33]
	v_add_f64 v[72:73], v[20:21], v[24:25]
	v_add_f64 v[74:75], v[24:25], v[28:29]
	;; [unrolled: 1-line block ×3, first 2 shown]
	v_add_f64 v[82:83], v[24:25], -v[28:29]
	v_add_f64 v[24:25], v[30:31], v[32:33]
	v_fma_f64 v[30:31], v[36:37], -0.5, v[16:17]
	v_fma_f64 v[32:33], v[46:47], -0.5, v[18:19]
	v_add_f64 v[64:65], v[12:13], v[40:41]
	v_add_f64 v[40:41], v[40:41], -v[56:57]
	v_add_f64 v[76:77], v[26:27], -v[60:61]
	v_add_f64 v[78:79], v[22:23], v[26:27]
	v_add_f64 v[26:27], v[62:63], v[34:35]
	v_fma_f64 v[34:35], v[66:67], -0.5, v[12:13]
	v_fma_f64 v[14:15], v[42:43], -0.5, v[14:15]
	;; [unrolled: 1-line block ×4, first 2 shown]
	v_fma_f64 v[20:21], v[38:39], s[2:3], v[30:31]
	v_fma_f64 v[22:23], v[44:45], s[6:7], v[32:33]
	v_add_f64 v[12:13], v[72:73], v[28:29]
	v_fma_f64 v[28:29], v[38:39], s[6:7], v[30:31]
	v_fma_f64 v[30:31], v[44:45], s[2:3], v[32:33]
	v_add_f64 v[16:17], v[64:65], v[56:57]
	v_add_f64 v[18:19], v[70:71], v[58:59]
	v_fma_f64 v[32:33], v[68:69], s[2:3], v[34:35]
	v_fma_f64 v[36:37], v[68:69], s[6:7], v[34:35]
	;; [unrolled: 1-line block ×4, first 2 shown]
	v_add_f64 v[14:15], v[78:79], v[60:61]
	v_fma_f64 v[40:41], v[76:77], s[2:3], v[42:43]
	v_fma_f64 v[44:45], v[76:77], s[6:7], v[42:43]
	;; [unrolled: 1-line block ×4, first 2 shown]
	ds_write_b128 v55, v[24:27]
	ds_write_b128 v55, v[20:23] offset:9600
	ds_write_b128 v55, v[28:31] offset:19200
	;; [unrolled: 1-line block ×8, first 2 shown]
	s_and_saveexec_b64 s[8:9], vcc
	s_cbranch_execz .LBB0_27
; %bb.26:
	v_not_b32_e32 v12, 59
	v_mov_b32_e32 v13, 0x21c
	v_cndmask_b32_e32 v12, v12, v13, vcc
	v_add_lshl_u32 v53, v52, v12, 1
	v_lshlrev_b64 v[12:13], 4, v[53:54]
	v_mov_b32_e32 v14, s13
	v_add_co_u32_e32 v12, vcc, s12, v12
	v_addc_co_u32_e32 v13, vcc, v14, v13, vcc
	v_add_co_u32_e32 v20, vcc, 0x24e0, v12
	v_addc_co_u32_e32 v21, vcc, 0, v13, vcc
	v_add_co_u32_e32 v22, vcc, s14, v12
	v_addc_co_u32_e32 v23, vcc, 0, v13, vcc
	global_load_dwordx4 v[12:15], v[22:23], off offset:1248
	global_load_dwordx4 v[16:19], v[20:21], off offset:16
	s_waitcnt vmcnt(1)
	v_mul_f64 v[20:21], v[0:1], v[14:15]
	s_waitcnt vmcnt(0)
	v_mul_f64 v[22:23], v[4:5], v[18:19]
	v_mul_f64 v[14:15], v[2:3], v[14:15]
	;; [unrolled: 1-line block ×3, first 2 shown]
	v_fma_f64 v[2:3], v[2:3], v[12:13], v[20:21]
	v_fma_f64 v[6:7], v[6:7], v[16:17], v[22:23]
	v_fma_f64 v[0:1], v[0:1], v[12:13], -v[14:15]
	v_fma_f64 v[4:5], v[4:5], v[16:17], -v[18:19]
	v_add_f64 v[18:19], v[10:11], v[2:3]
	v_add_f64 v[12:13], v[2:3], v[6:7]
	;; [unrolled: 1-line block ×3, first 2 shown]
	v_add_f64 v[16:17], v[0:1], -v[4:5]
	v_add_f64 v[0:1], v[8:9], v[0:1]
	v_fma_f64 v[10:11], v[12:13], -0.5, v[10:11]
	v_add_f64 v[12:13], v[2:3], -v[6:7]
	v_fma_f64 v[14:15], v[14:15], -0.5, v[8:9]
	v_add_f64 v[2:3], v[18:19], v[6:7]
	v_add_f64 v[0:1], v[0:1], v[4:5]
	v_fma_f64 v[6:7], v[16:17], s[2:3], v[10:11]
	v_fma_f64 v[10:11], v[16:17], s[6:7], v[10:11]
	;; [unrolled: 1-line block ×4, first 2 shown]
	ds_write_b128 v55, v[0:3] offset:8640
	ds_write_b128 v55, v[8:11] offset:18240
	;; [unrolled: 1-line block ×3, first 2 shown]
.LBB0_27:
	s_or_b64 exec, exec, s[8:9]
	s_waitcnt lgkmcnt(0)
	s_barrier
	s_and_saveexec_b64 s[2:3], s[0:1]
	s_cbranch_execz .LBB0_29
; %bb.28:
	v_mul_lo_u32 v0, s5, v50
	v_mul_lo_u32 v1, s4, v51
	v_mad_u64_u32 v[4:5], s[0:1], s4, v50, 0
	v_mov_b32_e32 v6, s11
	v_lshl_add_u32 v10, v52, 4, 0
	v_add3_u32 v5, v5, v1, v0
	v_lshlrev_b64 v[4:5], 4, v[4:5]
	v_mov_b32_e32 v53, 0
	v_add_co_u32_e32 v7, vcc, s10, v4
	v_addc_co_u32_e32 v6, vcc, v6, v5, vcc
	v_lshlrev_b64 v[4:5], 4, v[48:49]
	ds_read_b128 v[0:3], v10
	v_add_co_u32_e32 v11, vcc, v7, v4
	v_addc_co_u32_e32 v12, vcc, v6, v5, vcc
	v_lshlrev_b64 v[4:5], 4, v[52:53]
	v_add_co_u32_e32 v8, vcc, v11, v4
	v_addc_co_u32_e32 v9, vcc, v12, v5, vcc
	ds_read_b128 v[4:7], v10 offset:2880
	s_waitcnt lgkmcnt(1)
	global_store_dwordx4 v[8:9], v[0:3], off
	s_nop 0
	v_add_u32_e32 v0, 0xb4, v52
	v_mov_b32_e32 v1, v53
	v_lshlrev_b64 v[0:1], 4, v[0:1]
	v_add_co_u32_e32 v0, vcc, v11, v0
	v_addc_co_u32_e32 v1, vcc, v12, v1, vcc
	s_waitcnt lgkmcnt(0)
	global_store_dwordx4 v[0:1], v[4:7], off
	ds_read_b128 v[0:3], v10 offset:5760
	v_add_u32_e32 v4, 0x168, v52
	v_mov_b32_e32 v5, v53
	v_lshlrev_b64 v[4:5], 4, v[4:5]
	v_add_co_u32_e32 v8, vcc, v11, v4
	v_addc_co_u32_e32 v9, vcc, v12, v5, vcc
	ds_read_b128 v[4:7], v10 offset:8640
	s_waitcnt lgkmcnt(1)
	global_store_dwordx4 v[8:9], v[0:3], off
	s_nop 0
	v_add_u32_e32 v0, 0x21c, v52
	v_mov_b32_e32 v1, v53
	v_lshlrev_b64 v[0:1], 4, v[0:1]
	v_add_co_u32_e32 v0, vcc, v11, v0
	v_addc_co_u32_e32 v1, vcc, v12, v1, vcc
	s_waitcnt lgkmcnt(0)
	global_store_dwordx4 v[0:1], v[4:7], off
	ds_read_b128 v[0:3], v10 offset:11520
	v_add_u32_e32 v4, 0x2d0, v52
	v_mov_b32_e32 v5, v53
	;; [unrolled: 17-line block ×4, first 2 shown]
	v_lshlrev_b64 v[4:5], 4, v[4:5]
	v_add_u32_e32 v52, 0x654, v52
	v_add_co_u32_e32 v8, vcc, v11, v4
	v_addc_co_u32_e32 v9, vcc, v12, v5, vcc
	ds_read_b128 v[4:7], v10 offset:25920
	s_waitcnt lgkmcnt(1)
	global_store_dwordx4 v[8:9], v[0:3], off
	s_nop 0
	v_lshlrev_b64 v[0:1], 4, v[52:53]
	v_add_co_u32_e32 v0, vcc, v11, v0
	v_addc_co_u32_e32 v1, vcc, v12, v1, vcc
	s_waitcnt lgkmcnt(0)
	global_store_dwordx4 v[0:1], v[4:7], off
.LBB0_29:
	s_endpgm
	.section	.rodata,"a",@progbits
	.p2align	6, 0x0
	.amdhsa_kernel fft_rtc_fwd_len1800_factors_10_6_10_3_wgs_180_tpt_180_halfLds_dp_op_CI_CI_unitstride_sbrr_C2R_dirReg
		.amdhsa_group_segment_fixed_size 0
		.amdhsa_private_segment_fixed_size 0
		.amdhsa_kernarg_size 104
		.amdhsa_user_sgpr_count 6
		.amdhsa_user_sgpr_private_segment_buffer 1
		.amdhsa_user_sgpr_dispatch_ptr 0
		.amdhsa_user_sgpr_queue_ptr 0
		.amdhsa_user_sgpr_kernarg_segment_ptr 1
		.amdhsa_user_sgpr_dispatch_id 0
		.amdhsa_user_sgpr_flat_scratch_init 0
		.amdhsa_user_sgpr_private_segment_size 0
		.amdhsa_uses_dynamic_stack 0
		.amdhsa_system_sgpr_private_segment_wavefront_offset 0
		.amdhsa_system_sgpr_workgroup_id_x 1
		.amdhsa_system_sgpr_workgroup_id_y 0
		.amdhsa_system_sgpr_workgroup_id_z 0
		.amdhsa_system_sgpr_workgroup_info 0
		.amdhsa_system_vgpr_workitem_id 0
		.amdhsa_next_free_vgpr 113
		.amdhsa_next_free_sgpr 28
		.amdhsa_reserve_vcc 1
		.amdhsa_reserve_flat_scratch 0
		.amdhsa_float_round_mode_32 0
		.amdhsa_float_round_mode_16_64 0
		.amdhsa_float_denorm_mode_32 3
		.amdhsa_float_denorm_mode_16_64 3
		.amdhsa_dx10_clamp 1
		.amdhsa_ieee_mode 1
		.amdhsa_fp16_overflow 0
		.amdhsa_exception_fp_ieee_invalid_op 0
		.amdhsa_exception_fp_denorm_src 0
		.amdhsa_exception_fp_ieee_div_zero 0
		.amdhsa_exception_fp_ieee_overflow 0
		.amdhsa_exception_fp_ieee_underflow 0
		.amdhsa_exception_fp_ieee_inexact 0
		.amdhsa_exception_int_div_zero 0
	.end_amdhsa_kernel
	.text
.Lfunc_end0:
	.size	fft_rtc_fwd_len1800_factors_10_6_10_3_wgs_180_tpt_180_halfLds_dp_op_CI_CI_unitstride_sbrr_C2R_dirReg, .Lfunc_end0-fft_rtc_fwd_len1800_factors_10_6_10_3_wgs_180_tpt_180_halfLds_dp_op_CI_CI_unitstride_sbrr_C2R_dirReg
                                        ; -- End function
	.section	.AMDGPU.csdata,"",@progbits
; Kernel info:
; codeLenInByte = 9360
; NumSgprs: 32
; NumVgprs: 113
; ScratchSize: 0
; MemoryBound: 0
; FloatMode: 240
; IeeeMode: 1
; LDSByteSize: 0 bytes/workgroup (compile time only)
; SGPRBlocks: 3
; VGPRBlocks: 28
; NumSGPRsForWavesPerEU: 32
; NumVGPRsForWavesPerEU: 113
; Occupancy: 2
; WaveLimiterHint : 1
; COMPUTE_PGM_RSRC2:SCRATCH_EN: 0
; COMPUTE_PGM_RSRC2:USER_SGPR: 6
; COMPUTE_PGM_RSRC2:TRAP_HANDLER: 0
; COMPUTE_PGM_RSRC2:TGID_X_EN: 1
; COMPUTE_PGM_RSRC2:TGID_Y_EN: 0
; COMPUTE_PGM_RSRC2:TGID_Z_EN: 0
; COMPUTE_PGM_RSRC2:TIDIG_COMP_CNT: 0
	.type	__hip_cuid_9ad32322bbd2ec1b,@object ; @__hip_cuid_9ad32322bbd2ec1b
	.section	.bss,"aw",@nobits
	.globl	__hip_cuid_9ad32322bbd2ec1b
__hip_cuid_9ad32322bbd2ec1b:
	.byte	0                               ; 0x0
	.size	__hip_cuid_9ad32322bbd2ec1b, 1

	.ident	"AMD clang version 19.0.0git (https://github.com/RadeonOpenCompute/llvm-project roc-6.4.0 25133 c7fe45cf4b819c5991fe208aaa96edf142730f1d)"
	.section	".note.GNU-stack","",@progbits
	.addrsig
	.addrsig_sym __hip_cuid_9ad32322bbd2ec1b
	.amdgpu_metadata
---
amdhsa.kernels:
  - .args:
      - .actual_access:  read_only
        .address_space:  global
        .offset:         0
        .size:           8
        .value_kind:     global_buffer
      - .offset:         8
        .size:           8
        .value_kind:     by_value
      - .actual_access:  read_only
        .address_space:  global
        .offset:         16
        .size:           8
        .value_kind:     global_buffer
      - .actual_access:  read_only
        .address_space:  global
        .offset:         24
        .size:           8
        .value_kind:     global_buffer
      - .actual_access:  read_only
        .address_space:  global
        .offset:         32
        .size:           8
        .value_kind:     global_buffer
      - .offset:         40
        .size:           8
        .value_kind:     by_value
      - .actual_access:  read_only
        .address_space:  global
        .offset:         48
        .size:           8
        .value_kind:     global_buffer
      - .actual_access:  read_only
        .address_space:  global
        .offset:         56
        .size:           8
        .value_kind:     global_buffer
      - .offset:         64
        .size:           4
        .value_kind:     by_value
      - .actual_access:  read_only
        .address_space:  global
        .offset:         72
        .size:           8
        .value_kind:     global_buffer
      - .actual_access:  read_only
        .address_space:  global
        .offset:         80
        .size:           8
        .value_kind:     global_buffer
      - .actual_access:  read_only
        .address_space:  global
        .offset:         88
        .size:           8
        .value_kind:     global_buffer
      - .actual_access:  write_only
        .address_space:  global
        .offset:         96
        .size:           8
        .value_kind:     global_buffer
    .group_segment_fixed_size: 0
    .kernarg_segment_align: 8
    .kernarg_segment_size: 104
    .language:       OpenCL C
    .language_version:
      - 2
      - 0
    .max_flat_workgroup_size: 180
    .name:           fft_rtc_fwd_len1800_factors_10_6_10_3_wgs_180_tpt_180_halfLds_dp_op_CI_CI_unitstride_sbrr_C2R_dirReg
    .private_segment_fixed_size: 0
    .sgpr_count:     32
    .sgpr_spill_count: 0
    .symbol:         fft_rtc_fwd_len1800_factors_10_6_10_3_wgs_180_tpt_180_halfLds_dp_op_CI_CI_unitstride_sbrr_C2R_dirReg.kd
    .uniform_work_group_size: 1
    .uses_dynamic_stack: false
    .vgpr_count:     113
    .vgpr_spill_count: 0
    .wavefront_size: 64
amdhsa.target:   amdgcn-amd-amdhsa--gfx906
amdhsa.version:
  - 1
  - 2
...

	.end_amdgpu_metadata
